;; amdgpu-corpus repo=ROCm/rocFFT kind=compiled arch=gfx906 opt=O3
	.text
	.amdgcn_target "amdgcn-amd-amdhsa--gfx906"
	.amdhsa_code_object_version 6
	.protected	fft_rtc_back_len1716_factors_13_2_6_11_wgs_156_tpt_156_sp_ip_CI_unitstride_sbrr_R2C_dirReg ; -- Begin function fft_rtc_back_len1716_factors_13_2_6_11_wgs_156_tpt_156_sp_ip_CI_unitstride_sbrr_R2C_dirReg
	.globl	fft_rtc_back_len1716_factors_13_2_6_11_wgs_156_tpt_156_sp_ip_CI_unitstride_sbrr_R2C_dirReg
	.p2align	8
	.type	fft_rtc_back_len1716_factors_13_2_6_11_wgs_156_tpt_156_sp_ip_CI_unitstride_sbrr_R2C_dirReg,@function
fft_rtc_back_len1716_factors_13_2_6_11_wgs_156_tpt_156_sp_ip_CI_unitstride_sbrr_R2C_dirReg: ; @fft_rtc_back_len1716_factors_13_2_6_11_wgs_156_tpt_156_sp_ip_CI_unitstride_sbrr_R2C_dirReg
; %bb.0:
	s_load_dwordx2 s[12:13], s[4:5], 0x50
	s_load_dwordx4 s[8:11], s[4:5], 0x0
	s_load_dwordx2 s[2:3], s[4:5], 0x18
	v_mul_u32_u24_e32 v1, 0x1a5, v0
	v_add_u32_sdwa v5, s6, v1 dst_sel:DWORD dst_unused:UNUSED_PAD src0_sel:DWORD src1_sel:WORD_1
	v_mov_b32_e32 v3, 0
	s_waitcnt lgkmcnt(0)
	v_cmp_lt_u64_e64 s[0:1], s[10:11], 2
	v_mov_b32_e32 v1, 0
	v_mov_b32_e32 v6, v3
	s_and_b64 vcc, exec, s[0:1]
	v_mov_b32_e32 v2, 0
	s_cbranch_vccnz .LBB0_8
; %bb.1:
	s_load_dwordx2 s[0:1], s[4:5], 0x10
	s_add_u32 s6, s2, 8
	s_addc_u32 s7, s3, 0
	v_mov_b32_e32 v1, 0
	v_mov_b32_e32 v2, 0
	s_waitcnt lgkmcnt(0)
	s_add_u32 s14, s0, 8
	s_addc_u32 s15, s1, 0
	s_mov_b64 s[16:17], 1
.LBB0_2:                                ; =>This Inner Loop Header: Depth=1
	s_load_dwordx2 s[18:19], s[14:15], 0x0
                                        ; implicit-def: $vgpr7_vgpr8
	s_waitcnt lgkmcnt(0)
	v_or_b32_e32 v4, s19, v6
	v_cmp_ne_u64_e32 vcc, 0, v[3:4]
	s_and_saveexec_b64 s[0:1], vcc
	s_xor_b64 s[20:21], exec, s[0:1]
	s_cbranch_execz .LBB0_4
; %bb.3:                                ;   in Loop: Header=BB0_2 Depth=1
	v_cvt_f32_u32_e32 v4, s18
	v_cvt_f32_u32_e32 v7, s19
	s_sub_u32 s0, 0, s18
	s_subb_u32 s1, 0, s19
	v_mac_f32_e32 v4, 0x4f800000, v7
	v_rcp_f32_e32 v4, v4
	v_mul_f32_e32 v4, 0x5f7ffffc, v4
	v_mul_f32_e32 v7, 0x2f800000, v4
	v_trunc_f32_e32 v7, v7
	v_mac_f32_e32 v4, 0xcf800000, v7
	v_cvt_u32_f32_e32 v7, v7
	v_cvt_u32_f32_e32 v4, v4
	v_mul_lo_u32 v8, s0, v7
	v_mul_hi_u32 v9, s0, v4
	v_mul_lo_u32 v11, s1, v4
	v_mul_lo_u32 v10, s0, v4
	v_add_u32_e32 v8, v9, v8
	v_add_u32_e32 v8, v8, v11
	v_mul_hi_u32 v9, v4, v10
	v_mul_lo_u32 v11, v4, v8
	v_mul_hi_u32 v13, v4, v8
	v_mul_hi_u32 v12, v7, v10
	v_mul_lo_u32 v10, v7, v10
	v_mul_hi_u32 v14, v7, v8
	v_add_co_u32_e32 v9, vcc, v9, v11
	v_addc_co_u32_e32 v11, vcc, 0, v13, vcc
	v_mul_lo_u32 v8, v7, v8
	v_add_co_u32_e32 v9, vcc, v9, v10
	v_addc_co_u32_e32 v9, vcc, v11, v12, vcc
	v_addc_co_u32_e32 v10, vcc, 0, v14, vcc
	v_add_co_u32_e32 v8, vcc, v9, v8
	v_addc_co_u32_e32 v9, vcc, 0, v10, vcc
	v_add_co_u32_e32 v4, vcc, v4, v8
	v_addc_co_u32_e32 v7, vcc, v7, v9, vcc
	v_mul_lo_u32 v8, s0, v7
	v_mul_hi_u32 v9, s0, v4
	v_mul_lo_u32 v10, s1, v4
	v_mul_lo_u32 v11, s0, v4
	v_add_u32_e32 v8, v9, v8
	v_add_u32_e32 v8, v8, v10
	v_mul_lo_u32 v12, v4, v8
	v_mul_hi_u32 v13, v4, v11
	v_mul_hi_u32 v14, v4, v8
	;; [unrolled: 1-line block ×3, first 2 shown]
	v_mul_lo_u32 v11, v7, v11
	v_mul_hi_u32 v9, v7, v8
	v_add_co_u32_e32 v12, vcc, v13, v12
	v_addc_co_u32_e32 v13, vcc, 0, v14, vcc
	v_mul_lo_u32 v8, v7, v8
	v_add_co_u32_e32 v11, vcc, v12, v11
	v_addc_co_u32_e32 v10, vcc, v13, v10, vcc
	v_addc_co_u32_e32 v9, vcc, 0, v9, vcc
	v_add_co_u32_e32 v8, vcc, v10, v8
	v_addc_co_u32_e32 v9, vcc, 0, v9, vcc
	v_add_co_u32_e32 v4, vcc, v4, v8
	v_addc_co_u32_e32 v9, vcc, v7, v9, vcc
	v_mad_u64_u32 v[7:8], s[0:1], v5, v9, 0
	v_mul_hi_u32 v10, v5, v4
	v_add_co_u32_e32 v11, vcc, v10, v7
	v_addc_co_u32_e32 v12, vcc, 0, v8, vcc
	v_mad_u64_u32 v[7:8], s[0:1], v6, v4, 0
	v_mad_u64_u32 v[9:10], s[0:1], v6, v9, 0
	v_add_co_u32_e32 v4, vcc, v11, v7
	v_addc_co_u32_e32 v4, vcc, v12, v8, vcc
	v_addc_co_u32_e32 v7, vcc, 0, v10, vcc
	v_add_co_u32_e32 v4, vcc, v4, v9
	v_addc_co_u32_e32 v9, vcc, 0, v7, vcc
	v_mul_lo_u32 v10, s19, v4
	v_mul_lo_u32 v11, s18, v9
	v_mad_u64_u32 v[7:8], s[0:1], s18, v4, 0
	v_add3_u32 v8, v8, v11, v10
	v_sub_u32_e32 v10, v6, v8
	v_mov_b32_e32 v11, s19
	v_sub_co_u32_e32 v7, vcc, v5, v7
	v_subb_co_u32_e64 v10, s[0:1], v10, v11, vcc
	v_subrev_co_u32_e64 v11, s[0:1], s18, v7
	v_subbrev_co_u32_e64 v10, s[0:1], 0, v10, s[0:1]
	v_cmp_le_u32_e64 s[0:1], s19, v10
	v_cndmask_b32_e64 v12, 0, -1, s[0:1]
	v_cmp_le_u32_e64 s[0:1], s18, v11
	v_cndmask_b32_e64 v11, 0, -1, s[0:1]
	v_cmp_eq_u32_e64 s[0:1], s19, v10
	v_cndmask_b32_e64 v10, v12, v11, s[0:1]
	v_add_co_u32_e64 v11, s[0:1], 2, v4
	v_addc_co_u32_e64 v12, s[0:1], 0, v9, s[0:1]
	v_add_co_u32_e64 v13, s[0:1], 1, v4
	v_addc_co_u32_e64 v14, s[0:1], 0, v9, s[0:1]
	v_subb_co_u32_e32 v8, vcc, v6, v8, vcc
	v_cmp_ne_u32_e64 s[0:1], 0, v10
	v_cmp_le_u32_e32 vcc, s19, v8
	v_cndmask_b32_e64 v10, v14, v12, s[0:1]
	v_cndmask_b32_e64 v12, 0, -1, vcc
	v_cmp_le_u32_e32 vcc, s18, v7
	v_cndmask_b32_e64 v7, 0, -1, vcc
	v_cmp_eq_u32_e32 vcc, s19, v8
	v_cndmask_b32_e32 v7, v12, v7, vcc
	v_cmp_ne_u32_e32 vcc, 0, v7
	v_cndmask_b32_e64 v7, v13, v11, s[0:1]
	v_cndmask_b32_e32 v8, v9, v10, vcc
	v_cndmask_b32_e32 v7, v4, v7, vcc
.LBB0_4:                                ;   in Loop: Header=BB0_2 Depth=1
	s_andn2_saveexec_b64 s[0:1], s[20:21]
	s_cbranch_execz .LBB0_6
; %bb.5:                                ;   in Loop: Header=BB0_2 Depth=1
	v_cvt_f32_u32_e32 v4, s18
	s_sub_i32 s20, 0, s18
	v_rcp_iflag_f32_e32 v4, v4
	v_mul_f32_e32 v4, 0x4f7ffffe, v4
	v_cvt_u32_f32_e32 v4, v4
	v_mul_lo_u32 v7, s20, v4
	v_mul_hi_u32 v7, v4, v7
	v_add_u32_e32 v4, v4, v7
	v_mul_hi_u32 v4, v5, v4
	v_mul_lo_u32 v7, v4, s18
	v_add_u32_e32 v8, 1, v4
	v_sub_u32_e32 v7, v5, v7
	v_subrev_u32_e32 v9, s18, v7
	v_cmp_le_u32_e32 vcc, s18, v7
	v_cndmask_b32_e32 v7, v7, v9, vcc
	v_cndmask_b32_e32 v4, v4, v8, vcc
	v_add_u32_e32 v8, 1, v4
	v_cmp_le_u32_e32 vcc, s18, v7
	v_cndmask_b32_e32 v7, v4, v8, vcc
	v_mov_b32_e32 v8, v3
.LBB0_6:                                ;   in Loop: Header=BB0_2 Depth=1
	s_or_b64 exec, exec, s[0:1]
	v_mul_lo_u32 v4, v8, s18
	v_mul_lo_u32 v11, v7, s19
	v_mad_u64_u32 v[9:10], s[0:1], v7, s18, 0
	s_load_dwordx2 s[0:1], s[6:7], 0x0
	s_add_u32 s16, s16, 1
	v_add3_u32 v4, v10, v11, v4
	v_sub_co_u32_e32 v5, vcc, v5, v9
	v_subb_co_u32_e32 v4, vcc, v6, v4, vcc
	s_waitcnt lgkmcnt(0)
	v_mul_lo_u32 v4, s0, v4
	v_mul_lo_u32 v6, s1, v5
	v_mad_u64_u32 v[1:2], s[0:1], s0, v5, v[1:2]
	s_addc_u32 s17, s17, 0
	s_add_u32 s6, s6, 8
	v_add3_u32 v2, v6, v2, v4
	v_mov_b32_e32 v4, s10
	v_mov_b32_e32 v5, s11
	s_addc_u32 s7, s7, 0
	v_cmp_ge_u64_e32 vcc, s[16:17], v[4:5]
	s_add_u32 s14, s14, 8
	s_addc_u32 s15, s15, 0
	s_cbranch_vccnz .LBB0_9
; %bb.7:                                ;   in Loop: Header=BB0_2 Depth=1
	v_mov_b32_e32 v5, v7
	v_mov_b32_e32 v6, v8
	s_branch .LBB0_2
.LBB0_8:
	v_mov_b32_e32 v8, v6
	v_mov_b32_e32 v7, v5
.LBB0_9:
	s_lshl_b64 s[0:1], s[10:11], 3
	s_add_u32 s0, s2, s0
	s_addc_u32 s1, s3, s1
	s_load_dwordx2 s[2:3], s[0:1], 0x0
	s_load_dwordx2 s[6:7], s[4:5], 0x20
	s_waitcnt lgkmcnt(0)
	v_mad_u64_u32 v[1:2], s[0:1], s2, v7, v[1:2]
	s_mov_b32 s0, 0x1a41a42
	v_mul_lo_u32 v3, s2, v8
	v_mul_lo_u32 v4, s3, v7
	v_mul_hi_u32 v5, v0, s0
	v_cmp_gt_u64_e64 s[0:1], s[6:7], v[7:8]
	v_add3_u32 v2, v4, v2, v3
	v_mul_u32_u24_e32 v3, 0x9c, v5
	v_sub_u32_e32 v24, v0, v3
	v_lshlrev_b64 v[26:27], 3, v[1:2]
	v_lshl_add_u32 v34, v24, 3, 0
	s_and_saveexec_b64 s[2:3], s[0:1]
	s_cbranch_execz .LBB0_11
; %bb.10:
	v_mov_b32_e32 v25, 0
	v_mov_b32_e32 v0, s13
	v_add_co_u32_e32 v2, vcc, s12, v26
	v_addc_co_u32_e32 v3, vcc, v0, v27, vcc
	v_lshlrev_b64 v[0:1], 3, v[24:25]
	s_movk_i32 s4, 0x1000
	v_add_co_u32_e32 v0, vcc, v2, v0
	v_addc_co_u32_e32 v1, vcc, v3, v1, vcc
	v_add_co_u32_e32 v4, vcc, s4, v0
	v_addc_co_u32_e32 v5, vcc, 0, v1, vcc
	;; [unrolled: 2-line block ×3, first 2 shown]
	global_load_dwordx2 v[2:3], v[0:1], off offset:3744
	global_load_dwordx2 v[8:9], v[4:5], off offset:896
	;; [unrolled: 1-line block ×5, first 2 shown]
	global_load_dwordx2 v[16:17], v[0:1], off
	global_load_dwordx2 v[18:19], v[0:1], off offset:2496
	global_load_dwordx2 v[20:21], v[0:1], off offset:1248
	v_add_co_u32_e32 v0, vcc, 0x3000, v0
	v_addc_co_u32_e32 v1, vcc, 0, v1, vcc
	global_load_dwordx2 v[4:5], v[6:7], off offset:1792
	global_load_dwordx2 v[22:23], v[6:7], off offset:3040
	global_load_dwordx2 v[28:29], v[0:1], off offset:192
	v_add_u32_e32 v0, 0x800, v34
	v_add_u32_e32 v1, 0x1200, v34
	;; [unrolled: 1-line block ×4, first 2 shown]
	s_waitcnt vmcnt(4)
	ds_write2_b64 v0, v[18:19], v[2:3] offset0:56 offset1:212
	s_waitcnt vmcnt(3)
	ds_write2_b64 v34, v[16:17], v[20:21] offset1:156
	ds_write2_b64 v1, v[8:9], v[10:11] offset0:48 offset1:204
	ds_write2_b64 v6, v[12:13], v[14:15] offset0:40 offset1:196
	s_waitcnt vmcnt(1)
	ds_write2_b64 v7, v[4:5], v[22:23] offset0:96 offset1:252
	s_waitcnt vmcnt(0)
	ds_write_b64 v34, v[28:29] offset:12480
.LBB0_11:
	s_or_b64 exec, exec, s[2:3]
	s_waitcnt lgkmcnt(0)
	s_barrier
	ds_read2_b64 v[0:3], v34 offset1:132
	ds_read_b64 v[32:33], v34 offset:12672
	v_add_u32_e32 v35, 0x800, v34
	v_add_u32_e32 v25, 0x2800, v34
	ds_read2_b64 v[4:7], v35 offset0:8 offset1:140
	ds_read2_b64 v[8:11], v25 offset0:40 offset1:172
	s_waitcnt lgkmcnt(2)
	v_sub_f32_e32 v48, v3, v33
	v_add_f32_e32 v36, v32, v2
	s_mov_b32 s4, 0x3f116cb1
	v_mul_f32_e32 v52, 0xbf52af12, v48
	s_waitcnt lgkmcnt(0)
	v_sub_f32_e32 v49, v5, v11
	v_fma_f32 v12, v36, s4, -v52
	s_mov_b32 s5, 0xbeb58ec6
	v_add_f32_e32 v37, v10, v4
	v_mul_f32_e32 v54, 0xbf6f5d39, v49
	v_add_f32_e32 v51, v33, v3
	v_add_f32_e32 v12, v0, v12
	v_fma_f32 v13, v37, s5, -v54
	v_mul_f32_e32 v57, 0x3f116cb1, v51
	v_add_f32_e32 v53, v11, v5
	v_add_f32_e32 v12, v13, v12
	v_sub_f32_e32 v39, v2, v32
	v_mov_b32_e32 v13, v57
	v_mul_f32_e32 v58, 0xbeb58ec6, v53
	v_fmac_f32_e32 v13, 0xbf52af12, v39
	v_sub_f32_e32 v40, v4, v10
	v_mov_b32_e32 v14, v58
	v_sub_f32_e32 v50, v7, v9
	v_add_f32_e32 v13, v1, v13
	v_fmac_f32_e32 v14, 0xbf6f5d39, v40
	s_mov_b32 s6, 0xbf788fa5
	v_add_f32_e32 v38, v8, v6
	v_mul_f32_e32 v59, 0xbe750f2a, v50
	v_add_f32_e32 v20, v14, v13
	v_fma_f32 v13, v38, s6, -v59
	v_add_f32_e32 v21, v13, v12
	v_add_u32_e32 v12, 0x1000, v34
	v_add_u32_e32 v13, 0x2000, v34
	ds_read2_b64 v[16:19], v12 offset0:16 offset1:148
	ds_read2_b64 v[12:15], v13 offset0:32 offset1:164
	v_add_f32_e32 v56, v9, v7
	v_mul_f32_e32 v62, 0xbf788fa5, v56
	v_sub_f32_e32 v41, v6, v8
	v_mov_b32_e32 v22, v62
	s_waitcnt lgkmcnt(0)
	v_sub_f32_e32 v55, v17, v15
	v_fmac_f32_e32 v22, 0xbe750f2a, v41
	s_mov_b32 s7, 0xbf3f9e67
	v_add_f32_e32 v42, v14, v16
	v_mul_f32_e32 v63, 0x3f29c268, v55
	v_add_f32_e32 v61, v15, v17
	v_add_f32_e32 v20, v22, v20
	v_fma_f32 v22, v42, s7, -v63
	v_mul_f32_e32 v66, 0xbf3f9e67, v61
	v_add_f32_e32 v21, v22, v21
	v_sub_f32_e32 v44, v16, v14
	v_mov_b32_e32 v22, v66
	v_sub_f32_e32 v60, v19, v13
	v_fmac_f32_e32 v22, 0x3f29c268, v44
	s_mov_b32 s10, 0x3df6dbef
	v_add_f32_e32 v43, v12, v18
	v_mul_f32_e32 v67, 0x3f7e222b, v60
	v_add_f32_e32 v28, v22, v20
	v_fma_f32 v20, v43, s10, -v67
	v_add_f32_e32 v29, v20, v21
	v_add_u32_e32 v20, 0x1800, v34
	ds_read2_b64 v[20:23], v20 offset0:24 offset1:156
	v_add_f32_e32 v65, v13, v19
	v_mul_f32_e32 v69, 0x3df6dbef, v65
	v_sub_f32_e32 v45, v18, v12
	v_mov_b32_e32 v30, v69
	s_waitcnt lgkmcnt(0)
	v_sub_f32_e32 v64, v21, v23
	v_fmac_f32_e32 v30, 0x3f7e222b, v45
	s_mov_b32 s11, 0x3f62ad3f
	v_add_f32_e32 v46, v22, v20
	v_mul_f32_e32 v70, 0x3eedf032, v64
	v_add_f32_e32 v68, v23, v21
	v_add_f32_e32 v30, v30, v28
	v_fma_f32 v28, v46, s11, -v70
	v_mul_f32_e32 v71, 0x3f62ad3f, v68
	v_add_f32_e32 v28, v28, v29
	v_sub_f32_e32 v47, v20, v22
	v_mov_b32_e32 v29, v71
	v_fmac_f32_e32 v29, 0x3eedf032, v47
	v_mul_f32_e32 v72, 0xbf7e222b, v48
	v_add_f32_e32 v29, v29, v30
	v_fma_f32 v30, v36, s10, -v72
	v_mul_f32_e32 v73, 0xbe750f2a, v49
	v_add_f32_e32 v30, v0, v30
	v_fma_f32 v31, v37, s6, -v73
	v_mul_f32_e32 v78, 0x3df6dbef, v51
	v_add_f32_e32 v30, v31, v30
	v_mov_b32_e32 v31, v78
	v_mul_f32_e32 v79, 0xbf788fa5, v53
	v_fmac_f32_e32 v31, 0xbf7e222b, v39
	v_mov_b32_e32 v74, v79
	v_add_f32_e32 v31, v1, v31
	v_fmac_f32_e32 v74, 0xbe750f2a, v40
	v_add_f32_e32 v31, v74, v31
	v_mul_f32_e32 v74, 0x3f6f5d39, v50
	v_fma_f32 v75, v38, s5, -v74
	v_mul_f32_e32 v80, 0xbeb58ec6, v56
	v_add_f32_e32 v30, v75, v30
	v_mov_b32_e32 v75, v80
	v_fmac_f32_e32 v75, 0x3f6f5d39, v41
	v_add_f32_e32 v31, v75, v31
	v_mul_f32_e32 v75, 0x3eedf032, v55
	v_fma_f32 v76, v42, s11, -v75
	v_mul_f32_e32 v81, 0x3f62ad3f, v61
	v_add_f32_e32 v30, v76, v30
	v_mov_b32_e32 v76, v81
	;; [unrolled: 7-line block ×3, first 2 shown]
	v_fmac_f32_e32 v77, 0xbf52af12, v45
	v_add_f32_e32 v31, v77, v31
	v_mul_f32_e32 v77, 0xbf29c268, v64
	v_fma_f32 v83, v46, s7, -v77
	v_add_f32_e32 v30, v83, v30
	v_mul_f32_e32 v83, 0xbf3f9e67, v68
	v_mov_b32_e32 v84, v83
	v_fmac_f32_e32 v84, 0xbf29c268, v47
	s_movk_i32 s2, 0x84
	v_add_f32_e32 v31, v84, v31
	v_cmp_gt_u32_e32 vcc, s2, v24
	s_barrier
	s_and_saveexec_b64 s[2:3], vcc
	s_cbranch_execz .LBB0_13
; %bb.12:
	v_mul_f32_e32 v90, 0xbf788fa5, v51
	v_mov_b32_e32 v84, v90
	v_mul_f32_e32 v91, 0x3f62ad3f, v53
	v_fmac_f32_e32 v84, 0x3e750f2a, v39
	v_mov_b32_e32 v85, v91
	v_add_f32_e32 v84, v1, v84
	v_fmac_f32_e32 v85, 0xbeedf032, v40
	v_mul_f32_e32 v92, 0xbf3f9e67, v56
	v_add_f32_e32 v84, v85, v84
	v_mov_b32_e32 v85, v92
	v_fmac_f32_e32 v85, 0x3f29c268, v41
	v_mul_f32_e32 v93, 0x3f116cb1, v61
	v_add_f32_e32 v84, v85, v84
	v_mov_b32_e32 v85, v93
	v_fmac_f32_e32 v85, 0xbf52af12, v44
	v_mul_f32_e32 v94, 0xbeb58ec6, v65
	v_add_f32_e32 v84, v85, v84
	v_mov_b32_e32 v85, v94
	v_fmac_f32_e32 v85, 0x3f6f5d39, v45
	v_mul_f32_e32 v95, 0x3df6dbef, v68
	v_add_f32_e32 v84, v85, v84
	v_mov_b32_e32 v85, v95
	v_fmac_f32_e32 v85, 0xbf7e222b, v47
	v_mul_f32_e32 v96, 0xbe750f2a, v48
	v_add_f32_e32 v85, v85, v84
	v_mov_b32_e32 v84, v96
	v_mul_f32_e32 v97, 0x3eedf032, v49
	v_fmac_f32_e32 v84, 0xbf788fa5, v36
	v_mov_b32_e32 v86, v97
	v_add_f32_e32 v84, v0, v84
	v_fmac_f32_e32 v86, 0x3f62ad3f, v37
	v_mul_f32_e32 v98, 0xbf29c268, v50
	v_add_f32_e32 v84, v86, v84
	v_mov_b32_e32 v86, v98
	v_fmac_f32_e32 v86, 0xbf3f9e67, v38
	v_mul_f32_e32 v99, 0x3f52af12, v55
	v_add_f32_e32 v84, v86, v84
	v_mov_b32_e32 v86, v99
	v_fmac_f32_e32 v86, 0x3f116cb1, v42
	v_mul_f32_e32 v100, 0xbf6f5d39, v60
	v_add_f32_e32 v84, v86, v84
	v_mov_b32_e32 v86, v100
	v_fmac_f32_e32 v86, 0xbeb58ec6, v43
	v_mul_f32_e32 v101, 0x3f7e222b, v64
	v_add_f32_e32 v84, v86, v84
	v_mov_b32_e32 v86, v101
	v_fmac_f32_e32 v86, 0x3df6dbef, v46
	v_mul_f32_e32 v102, 0xbf3f9e67, v51
	v_add_f32_e32 v84, v86, v84
	;; [unrolled: 24-line block ×5, first 2 shown]
	v_mov_b32_e32 v88, v120
	v_mul_f32_e32 v121, 0x3f29c268, v49
	v_fmac_f32_e32 v88, 0xbeb58ec6, v36
	v_mov_b32_e32 v122, v121
	v_add_f32_e32 v88, v0, v88
	v_fmac_f32_e32 v122, 0xbf3f9e67, v37
	v_add_f32_e32 v88, v122, v88
	v_mul_f32_e32 v122, 0x3eedf032, v50
	v_mov_b32_e32 v123, v122
	v_fmac_f32_e32 v123, 0x3f62ad3f, v38
	v_add_f32_e32 v88, v123, v88
	v_mul_f32_e32 v123, 0xbf7e222b, v55
	v_mov_b32_e32 v124, v123
	v_fmac_f32_e32 v124, 0x3df6dbef, v42
	v_add_f32_e32 v88, v124, v88
	v_mul_f32_e32 v124, 0x3e750f2a, v60
	v_mov_b32_e32 v125, v124
	v_fmac_f32_e32 v125, 0xbf788fa5, v43
	v_add_f32_e32 v88, v125, v88
	v_mul_f32_e32 v125, 0x3f52af12, v64
	v_mov_b32_e32 v126, v125
	v_fmac_f32_e32 v126, 0x3f116cb1, v46
	v_add_f32_e32 v88, v126, v88
	v_mul_f32_e32 v126, 0xbf7e222b, v39
	v_sub_f32_e32 v78, v78, v126
	v_mul_f32_e32 v126, 0xbe750f2a, v40
	v_sub_f32_e32 v79, v79, v126
	v_add_f32_e32 v78, v1, v78
	v_add_f32_e32 v78, v79, v78
	v_mul_f32_e32 v79, 0x3f6f5d39, v41
	v_sub_f32_e32 v79, v80, v79
	v_add_f32_e32 v78, v79, v78
	v_mul_f32_e32 v79, 0x3eedf032, v44
	v_sub_f32_e32 v79, v81, v79
	v_mul_f32_e32 v81, 0x3df6dbef, v36
	v_add_f32_e32 v72, v81, v72
	v_mul_f32_e32 v81, 0xbf788fa5, v37
	v_add_f32_e32 v73, v81, v73
	v_add_f32_e32 v72, v0, v72
	;; [unrolled: 1-line block ×3, first 2 shown]
	v_mul_f32_e32 v73, 0xbeb58ec6, v38
	v_add_f32_e32 v2, v0, v2
	v_fmac_f32_e32 v90, 0xbe750f2a, v39
	v_add_f32_e32 v73, v73, v74
	v_add_f32_e32 v2, v2, v4
	;; [unrolled: 1-line block ×3, first 2 shown]
	v_fmac_f32_e32 v91, 0x3eedf032, v40
	v_add_f32_e32 v78, v79, v78
	v_mul_f32_e32 v79, 0xbf52af12, v45
	v_add_f32_e32 v72, v73, v72
	v_mul_f32_e32 v73, 0x3f62ad3f, v42
	v_add_f32_e32 v4, v91, v4
	v_fmac_f32_e32 v92, 0xbf29c268, v41
	v_sub_f32_e32 v79, v82, v79
	v_add_f32_e32 v73, v73, v75
	v_add_f32_e32 v4, v92, v4
	v_fmac_f32_e32 v93, 0x3f52af12, v44
	v_mul_f32_e32 v126, 0x3f116cb1, v36
	v_mul_f32_e32 v80, 0xbf52af12, v39
	v_add_f32_e32 v78, v79, v78
	v_mul_f32_e32 v79, 0xbf29c268, v47
	v_add_f32_e32 v72, v73, v72
	;; [unrolled: 2-line block ×3, first 2 shown]
	v_fmac_f32_e32 v94, 0xbf6f5d39, v45
	v_mul_f32_e32 v82, 0xbeb58ec6, v37
	v_sub_f32_e32 v79, v83, v79
	v_mul_f32_e32 v83, 0xbf6f5d39, v40
	v_add_f32_e32 v73, v73, v76
	v_sub_f32_e32 v57, v57, v80
	v_add_f32_e32 v52, v126, v52
	v_add_f32_e32 v3, v1, v3
	;; [unrolled: 1-line block ×3, first 2 shown]
	v_fmac_f32_e32 v95, 0x3f7e222b, v47
	v_mul_f32_e32 v81, 0xbf788fa5, v38
	v_mul_f32_e32 v74, 0xbe750f2a, v41
	v_add_f32_e32 v72, v73, v72
	v_mul_f32_e32 v73, 0xbf3f9e67, v46
	v_add_f32_e32 v57, v1, v57
	v_sub_f32_e32 v58, v58, v83
	v_add_f32_e32 v52, v0, v52
	v_add_f32_e32 v54, v82, v54
	;; [unrolled: 1-line block ×4, first 2 shown]
	v_fma_f32 v4, v36, s6, -v96
	v_mul_f32_e32 v75, 0xbf3f9e67, v42
	v_mul_f32_e32 v76, 0x3f29c268, v44
	v_add_f32_e32 v77, v73, v77
	v_add_f32_e32 v57, v58, v57
	v_sub_f32_e32 v58, v62, v74
	v_add_f32_e32 v52, v54, v52
	v_add_f32_e32 v54, v81, v59
	;; [unrolled: 1-line block ×4, first 2 shown]
	v_fma_f32 v6, v37, s11, -v97
	v_mul_f32_e32 v127, 0x3df6dbef, v43
	v_add_f32_e32 v72, v77, v72
	v_mul_f32_e32 v77, 0x3f7e222b, v45
	v_add_f32_e32 v57, v58, v57
	v_sub_f32_e32 v58, v66, v76
	v_add_f32_e32 v52, v54, v52
	v_add_f32_e32 v54, v75, v63
	;; [unrolled: 1-line block ×3, first 2 shown]
	v_fma_f32 v6, v38, s7, -v98
	v_add_f32_e32 v73, v79, v78
	v_mul_f32_e32 v78, 0x3f62ad3f, v46
	v_mul_f32_e32 v79, 0x3eedf032, v47
	v_add_f32_e32 v57, v58, v57
	v_sub_f32_e32 v58, v69, v77
	v_add_f32_e32 v52, v54, v52
	v_add_f32_e32 v54, v127, v67
	;; [unrolled: 1-line block ×3, first 2 shown]
	v_fma_f32 v6, v42, s4, -v99
	v_add_f32_e32 v57, v58, v57
	v_sub_f32_e32 v58, v71, v79
	v_add_f32_e32 v52, v54, v52
	v_add_f32_e32 v54, v78, v70
	;; [unrolled: 1-line block ×3, first 2 shown]
	v_fma_f32 v6, v43, s5, -v100
	v_add_f32_e32 v58, v58, v57
	v_add_f32_e32 v57, v54, v52
	v_mul_f32_e32 v52, 0x3f62ad3f, v51
	v_add_f32_e32 v4, v6, v4
	v_fma_f32 v6, v46, s10, -v101
	v_fmac_f32_e32 v102, 0xbf29c268, v39
	v_mov_b32_e32 v51, v52
	v_mul_f32_e32 v53, 0x3f116cb1, v53
	v_add_f32_e32 v2, v2, v16
	v_add_f32_e32 v4, v6, v4
	;; [unrolled: 1-line block ×3, first 2 shown]
	v_fmac_f32_e32 v103, 0x3f7e222b, v40
	v_fmac_f32_e32 v51, 0x3eedf032, v39
	v_mov_b32_e32 v54, v53
	v_add_f32_e32 v2, v2, v18
	v_add_f32_e32 v6, v103, v6
	v_fmac_f32_e32 v104, 0xbf52af12, v41
	v_add_f32_e32 v51, v1, v51
	v_fmac_f32_e32 v54, 0x3f52af12, v40
	v_add_f32_e32 v2, v2, v20
	v_add_f32_e32 v6, v104, v6
	v_fmac_f32_e32 v105, 0x3e750f2a, v44
	v_add_f32_e32 v51, v54, v51
	v_mul_f32_e32 v54, 0x3df6dbef, v56
	v_add_f32_e32 v2, v2, v22
	v_add_f32_e32 v6, v105, v6
	v_fmac_f32_e32 v106, 0x3eedf032, v45
	v_mov_b32_e32 v56, v54
	v_add_f32_e32 v2, v2, v12
	v_add_f32_e32 v6, v106, v6
	v_fmac_f32_e32 v107, 0xbf6f5d39, v47
	v_fmac_f32_e32 v56, 0x3f7e222b, v41
	v_add_f32_e32 v3, v3, v7
	v_add_f32_e32 v2, v2, v14
	;; [unrolled: 1-line block ×3, first 2 shown]
	v_fma_f32 v6, v36, s7, -v108
	v_add_f32_e32 v51, v56, v51
	v_mul_f32_e32 v56, 0xbeb58ec6, v61
	v_add_f32_e32 v2, v2, v8
	v_add_f32_e32 v6, v0, v6
	v_fma_f32 v8, v37, s10, -v109
	v_mov_b32_e32 v59, v56
	v_add_f32_e32 v6, v8, v6
	v_fma_f32 v8, v38, s4, -v110
	v_fmac_f32_e32 v59, 0x3f6f5d39, v44
	v_add_f32_e32 v6, v8, v6
	v_fma_f32 v8, v42, s6, -v111
	v_add_f32_e32 v51, v59, v51
	v_mul_f32_e32 v59, 0xbf3f9e67, v65
	v_add_f32_e32 v6, v8, v6
	v_fma_f32 v8, v43, s11, -v112
	v_mov_b32_e32 v61, v59
	v_add_f32_e32 v3, v3, v17
	v_add_f32_e32 v6, v8, v6
	v_fma_f32 v8, v46, s5, -v113
	v_fmac_f32_e32 v114, 0xbf6f5d39, v39
	v_fmac_f32_e32 v61, 0x3f29c268, v45
	v_add_f32_e32 v3, v3, v19
	v_add_f32_e32 v6, v8, v6
	;; [unrolled: 1-line block ×3, first 2 shown]
	v_fmac_f32_e32 v115, 0x3f29c268, v40
	v_add_f32_e32 v51, v61, v51
	v_mul_f32_e32 v61, 0xbf788fa5, v68
	v_add_f32_e32 v3, v3, v21
	v_add_f32_e32 v8, v115, v8
	v_fmac_f32_e32 v116, 0x3eedf032, v41
	v_mov_b32_e32 v62, v61
	v_add_f32_e32 v3, v3, v23
	v_add_f32_e32 v8, v116, v8
	v_fmac_f32_e32 v117, 0xbf7e222b, v44
	v_fmac_f32_e32 v62, 0x3e750f2a, v47
	v_mul_f32_e32 v48, 0xbeedf032, v48
	v_add_f32_e32 v3, v3, v13
	v_add_f32_e32 v8, v117, v8
	v_fmac_f32_e32 v118, 0x3e750f2a, v45
	v_add_f32_e32 v51, v62, v51
	v_mov_b32_e32 v62, v48
	v_mul_f32_e32 v49, 0xbf52af12, v49
	v_add_f32_e32 v3, v3, v15
	v_add_f32_e32 v8, v118, v8
	v_fmac_f32_e32 v119, 0x3f52af12, v47
	v_fmac_f32_e32 v62, 0x3f62ad3f, v36
	v_mov_b32_e32 v63, v49
	v_add_f32_e32 v3, v3, v9
	v_add_f32_e32 v9, v119, v8
	v_fma_f32 v8, v36, s5, -v120
	v_add_f32_e32 v62, v0, v62
	v_fmac_f32_e32 v63, 0x3f116cb1, v37
	v_add_f32_e32 v2, v2, v10
	v_add_f32_e32 v8, v0, v8
	v_fma_f32 v10, v37, s7, -v121
	v_add_f32_e32 v62, v63, v62
	v_mul_f32_e32 v63, 0xbf7e222b, v50
	v_add_f32_e32 v8, v10, v8
	v_fma_f32 v10, v38, s11, -v122
	v_mov_b32_e32 v50, v63
	v_add_f32_e32 v8, v10, v8
	v_fma_f32 v10, v42, s10, -v123
	v_fmac_f32_e32 v50, 0x3df6dbef, v38
	v_mul_f32_e32 v55, 0xbf6f5d39, v55
	v_add_f32_e32 v8, v10, v8
	v_fma_f32 v10, v43, s6, -v124
	v_add_f32_e32 v50, v50, v62
	v_mov_b32_e32 v62, v55
	v_add_f32_e32 v8, v10, v8
	v_fma_f32 v10, v46, s4, -v125
	v_fmac_f32_e32 v62, 0xbeb58ec6, v42
	v_mul_f32_e32 v60, 0xbf29c268, v60
	v_add_f32_e32 v8, v10, v8
	v_fma_f32 v10, v36, s11, -v48
	v_add_f32_e32 v50, v62, v50
	v_mov_b32_e32 v62, v60
	v_fmac_f32_e32 v52, 0xbeedf032, v39
	v_add_f32_e32 v0, v0, v10
	v_fma_f32 v10, v37, s4, -v49
	v_fmac_f32_e32 v62, 0xbf3f9e67, v43
	v_add_f32_e32 v1, v1, v52
	v_fmac_f32_e32 v53, 0xbf52af12, v40
	v_add_f32_e32 v0, v10, v0
	v_fma_f32 v10, v38, s10, -v63
	v_add_f32_e32 v50, v62, v50
	v_mul_f32_e32 v62, 0xbe750f2a, v64
	v_add_f32_e32 v1, v53, v1
	v_fmac_f32_e32 v54, 0xbf7e222b, v41
	v_add_f32_e32 v0, v10, v0
	v_fma_f32 v10, v42, s5, -v55
	v_mov_b32_e32 v64, v62
	v_add_f32_e32 v1, v54, v1
	v_fmac_f32_e32 v56, 0xbf6f5d39, v44
	v_add_f32_e32 v0, v10, v0
	v_fma_f32 v10, v43, s7, -v60
	v_fmac_f32_e32 v64, 0xbf788fa5, v46
	v_add_f32_e32 v3, v3, v11
	v_add_f32_e32 v1, v56, v1
	v_fmac_f32_e32 v59, 0xbf29c268, v45
	v_add_f32_e32 v0, v10, v0
	v_fma_f32 v10, v46, s6, -v62
	s_movk_i32 s4, 0x60
	v_add_f32_e32 v50, v64, v50
	v_add_f32_e32 v3, v3, v33
	;; [unrolled: 1-line block ×4, first 2 shown]
	v_fmac_f32_e32 v61, 0xbe750f2a, v47
	v_add_f32_e32 v0, v10, v0
	v_mad_u32_u24 v10, v24, s4, v34
	v_add_f32_e32 v1, v61, v1
	ds_write2_b64 v10, v[2:3], v[50:51] offset1:1
	ds_write2_b64 v10, v[57:58], v[72:73] offset0:2 offset1:3
	ds_write2_b64 v10, v[88:89], v[86:87] offset0:4 offset1:5
	;; [unrolled: 1-line block ×5, first 2 shown]
	ds_write_b64 v10, v[0:1] offset:96
.LBB0_13:
	s_or_b64 exec, exec, s[2:3]
	v_add_u32_e32 v0, 0x1300, v34
	v_add_u32_e32 v8, 0x1e00, v34
	s_waitcnt lgkmcnt(0)
	s_barrier
	ds_read2_b64 v[4:7], v34 offset1:156
	ds_read2_b64 v[0:3], v0 offset0:16 offset1:250
	ds_read2_b64 v[12:15], v8 offset0:54 offset1:210
	;; [unrolled: 1-line block ×4, first 2 shown]
	s_movk_i32 s2, 0x4e
	v_cmp_gt_u32_e32 vcc, s2, v24
	s_and_saveexec_b64 s[2:3], vcc
	s_cbranch_execz .LBB0_15
; %bb.14:
	ds_read_b64 v[30:31], v34 offset:6240
	ds_read_b64 v[28:29], v34 offset:13104
.LBB0_15:
	s_or_b64 exec, exec, s[2:3]
	s_movk_i32 s2, 0x4f
	v_mul_lo_u16_sdwa v22, v24, s2 dst_sel:DWORD dst_unused:UNUSED_PAD src0_sel:BYTE_0 src1_sel:DWORD
	v_lshrrev_b16_e32 v43, 10, v22
	v_mul_lo_u16_e32 v22, 13, v43
	v_add_u32_e32 v25, 0x9c, v24
	v_sub_u16_e32 v22, v24, v22
	v_mov_b32_e32 v23, 3
	s_movk_i32 s2, 0x4ec5
	v_lshlrev_b32_sdwa v44, v23, v22 dst_sel:DWORD dst_unused:UNUSED_PAD src0_sel:DWORD src1_sel:BYTE_0
	v_mul_u32_u24_sdwa v22, v25, s2 dst_sel:DWORD dst_unused:UNUSED_PAD src0_sel:WORD_0 src1_sel:DWORD
	v_lshrrev_b32_e32 v45, 18, v22
	v_mul_lo_u16_e32 v22, 13, v45
	v_add_u32_e32 v20, 0x138, v24
	v_sub_u16_e32 v22, v25, v22
	v_lshlrev_b32_e32 v46, 3, v22
	v_mul_u32_u24_sdwa v22, v20, s2 dst_sel:DWORD dst_unused:UNUSED_PAD src0_sel:WORD_0 src1_sel:DWORD
	v_lshrrev_b32_e32 v47, 18, v22
	v_mul_lo_u16_e32 v22, 13, v47
	v_add_u32_e32 v21, 0x1d4, v24
	v_sub_u16_e32 v20, v20, v22
	v_lshlrev_b32_e32 v48, 3, v20
	;; [unrolled: 6-line block ×4, first 2 shown]
	v_mul_u32_u24_sdwa v20, v40, s2 dst_sel:DWORD dst_unused:UNUSED_PAD src0_sel:WORD_0 src1_sel:DWORD
	v_lshrrev_b32_e32 v20, 18, v20
	v_mul_lo_u16_e32 v21, 13, v20
	v_sub_u16_e32 v21, v40, v21
	global_load_dwordx2 v[22:23], v44, s[8:9]
	global_load_dwordx2 v[32:33], v46, s[8:9]
	;; [unrolled: 1-line block ×4, first 2 shown]
	v_lshlrev_b32_e32 v21, 3, v21
	global_load_dwordx2 v[39:40], v52, s[8:9]
	global_load_dwordx2 v[41:42], v21, s[8:9]
	s_waitcnt vmcnt(0) lgkmcnt(0)
	s_barrier
	v_mul_f32_e32 v53, v23, v3
	v_mul_f32_e32 v54, v33, v13
	;; [unrolled: 1-line block ×10, first 2 shown]
	v_fmac_f32_e32 v54, v32, v12
	v_fma_f32 v12, v35, v15, -v36
	v_fmac_f32_e32 v56, v37, v16
	v_mul_f32_e32 v57, v40, v19
	v_mul_f32_e32 v40, v40, v18
	v_fmac_f32_e32 v53, v22, v2
	v_fma_f32 v2, v22, v3, -v23
	v_fma_f32 v3, v32, v13, -v33
	;; [unrolled: 1-line block ×4, first 2 shown]
	v_sub_f32_e32 v29, v9, v12
	v_sub_f32_e32 v12, v10, v56
	v_fmac_f32_e32 v57, v39, v18
	v_fma_f32 v15, v39, v19, -v40
	v_sub_f32_e32 v18, v4, v53
	v_sub_f32_e32 v19, v5, v2
	v_fma_f32 v2, v10, 2.0, -v12
	v_mul_u32_u24_e32 v10, 0xd0, v43
	v_fma_f32 v32, v4, 2.0, -v18
	v_fma_f32 v33, v5, 2.0, -v19
	v_add3_u32 v10, 0, v10, v44
	v_sub_f32_e32 v22, v6, v54
	v_sub_f32_e32 v23, v7, v3
	ds_write2_b64 v10, v[32:33], v[18:19] offset1:13
	v_mul_u32_u24_e32 v10, 0xd0, v45
	v_fmac_f32_e32 v55, v35, v14
	v_fma_f32 v6, v6, 2.0, -v22
	v_fma_f32 v7, v7, 2.0, -v23
	v_add3_u32 v10, 0, v10, v46
	v_fmac_f32_e32 v58, v28, v41
	v_sub_f32_e32 v28, v8, v55
	ds_write2_b64 v10, v[6:7], v[22:23] offset1:13
	v_mul_u32_u24_e32 v6, 0xd0, v47
	v_fma_f32 v8, v8, 2.0, -v28
	v_fma_f32 v9, v9, 2.0, -v29
	v_add3_u32 v6, 0, v6, v48
	v_sub_f32_e32 v13, v11, v13
	ds_write2_b64 v6, v[8:9], v[28:29] offset1:13
	v_mul_u32_u24_e32 v6, 0xd0, v49
	v_fma_f32 v3, v11, 2.0, -v13
	v_add3_u32 v6, 0, v6, v50
	v_sub_f32_e32 v14, v0, v57
	v_sub_f32_e32 v15, v1, v15
	;; [unrolled: 1-line block ×4, first 2 shown]
	ds_write2_b64 v6, v[2:3], v[12:13] offset1:13
	v_mul_u32_u24_e32 v6, 0xd0, v51
	v_fma_f32 v0, v0, 2.0, -v14
	v_fma_f32 v1, v1, 2.0, -v15
	;; [unrolled: 1-line block ×4, first 2 shown]
	v_add3_u32 v6, 0, v6, v52
	ds_write2_b64 v6, v[0:1], v[14:15] offset1:13
	s_and_saveexec_b64 s[2:3], vcc
	s_cbranch_execz .LBB0_17
; %bb.16:
	v_mul_lo_u16_e32 v6, 26, v20
	v_lshlrev_b32_e32 v6, 3, v6
	v_add3_u32 v6, 0, v21, v6
	ds_write2_b64 v6, v[4:5], v[16:17] offset1:13
.LBB0_17:
	s_or_b64 exec, exec, s[2:3]
	s_waitcnt lgkmcnt(0)
	s_barrier
	ds_read_b64 v[6:7], v34
	ds_read_b64 v[22:23], v34 offset:2288
	ds_read_b64 v[20:21], v34 offset:4576
	;; [unrolled: 1-line block ×5, first 2 shown]
	s_movk_i32 s2, 0x82
	v_cmp_gt_u32_e64 s[2:3], s2, v24
	s_and_saveexec_b64 s[4:5], s[2:3]
	s_cbranch_execz .LBB0_19
; %bb.18:
	ds_read_b64 v[2:3], v34 offset:1248
	ds_read_b64 v[12:13], v34 offset:3536
	;; [unrolled: 1-line block ×6, first 2 shown]
.LBB0_19:
	s_or_b64 exec, exec, s[4:5]
	s_movk_i32 s4, 0x4f
	v_mul_lo_u16_sdwa v28, v24, s4 dst_sel:DWORD dst_unused:UNUSED_PAD src0_sel:BYTE_0 src1_sel:DWORD
	v_lshrrev_b16_e32 v39, 11, v28
	v_mul_lo_u16_e32 v28, 26, v39
	v_sub_u16_e32 v40, v24, v28
	v_mov_b32_e32 v28, 5
	v_mul_u32_u24_sdwa v28, v40, v28 dst_sel:DWORD dst_unused:UNUSED_PAD src0_sel:BYTE_0 src1_sel:DWORD
	v_lshlrev_b32_e32 v41, 3, v28
	global_load_dwordx4 v[28:31], v41, s[8:9] offset:104
	global_load_dwordx4 v[35:38], v41, s[8:9] offset:120
	global_load_dwordx2 v[32:33], v41, s[8:9] offset:136
	v_mov_b32_e32 v41, 3
	v_mul_u32_u24_e32 v39, 0x4e0, v39
	v_lshlrev_b32_sdwa v40, v41, v40 dst_sel:DWORD dst_unused:UNUSED_PAD src0_sel:DWORD src1_sel:BYTE_0
	v_add3_u32 v39, 0, v39, v40
	s_waitcnt vmcnt(0) lgkmcnt(0)
	s_barrier
	v_mul_f32_e32 v40, v29, v23
	v_mul_f32_e32 v29, v29, v22
	;; [unrolled: 1-line block ×10, first 2 shown]
	v_fmac_f32_e32 v40, v28, v22
	v_fma_f32 v22, v28, v23, -v29
	v_fmac_f32_e32 v42, v35, v18
	v_fma_f32 v18, v35, v19, -v36
	;; [unrolled: 2-line block ×5, first 2 shown]
	v_sub_f32_e32 v30, v18, v8
	v_add_f32_e32 v31, v22, v18
	v_add_f32_e32 v18, v18, v8
	;; [unrolled: 1-line block ×3, first 2 shown]
	v_sub_f32_e32 v19, v20, v10
	v_add_f32_e32 v21, v7, v20
	v_add_f32_e32 v20, v20, v10
	;; [unrolled: 1-line block ×3, first 2 shown]
	v_sub_f32_e32 v32, v42, v44
	v_fmac_f32_e32 v22, -0.5, v18
	v_add_f32_e32 v9, v6, v41
	v_add_f32_e32 v28, v40, v42
	v_fma_f32 v6, -0.5, v11, v6
	v_add_f32_e32 v11, v21, v10
	v_fmac_f32_e32 v7, -0.5, v20
	v_fmac_f32_e32 v40, -0.5, v29
	v_add_f32_e32 v20, v31, v8
	v_mov_b32_e32 v18, v22
	v_fmac_f32_e32 v22, 0xbf5db3d7, v32
	v_sub_f32_e32 v23, v41, v43
	v_add_f32_e32 v33, v9, v43
	v_mov_b32_e32 v29, v7
	v_mov_b32_e32 v21, v40
	v_fmac_f32_e32 v40, 0x3f5db3d7, v30
	v_add_f32_e32 v9, v11, v20
	v_sub_f32_e32 v11, v11, v20
	v_fmac_f32_e32 v18, 0x3f5db3d7, v32
	v_mul_f32_e32 v20, 0xbf5db3d7, v22
	v_mul_f32_e32 v22, -0.5, v22
	v_add_f32_e32 v10, v28, v44
	v_mov_b32_e32 v28, v6
	v_fmac_f32_e32 v6, 0x3f5db3d7, v19
	v_fmac_f32_e32 v7, 0xbf5db3d7, v23
	;; [unrolled: 1-line block ×4, first 2 shown]
	v_mul_f32_e32 v23, 0xbf5db3d7, v18
	v_fmac_f32_e32 v20, -0.5, v40
	v_mul_f32_e32 v30, 0.5, v18
	v_fmac_f32_e32 v22, 0x3f5db3d7, v40
	v_add_f32_e32 v8, v33, v10
	v_sub_f32_e32 v10, v33, v10
	v_fmac_f32_e32 v28, 0xbf5db3d7, v19
	v_fmac_f32_e32 v23, 0.5, v21
	v_add_f32_e32 v18, v6, v20
	v_fmac_f32_e32 v30, 0x3f5db3d7, v21
	v_add_f32_e32 v19, v7, v22
	v_sub_f32_e32 v6, v6, v20
	v_sub_f32_e32 v7, v7, v22
	v_add_f32_e32 v20, v28, v23
	v_add_f32_e32 v21, v29, v30
	v_sub_f32_e32 v22, v28, v23
	v_sub_f32_e32 v23, v29, v30
	ds_write2_b64 v39, v[18:19], v[10:11] offset0:52 offset1:78
	ds_write2_b64 v39, v[8:9], v[20:21] offset1:26
	ds_write2_b64 v39, v[22:23], v[6:7] offset0:104 offset1:130
	s_and_saveexec_b64 s[4:5], s[2:3]
	s_cbranch_execz .LBB0_21
; %bb.20:
	s_movk_i32 s2, 0x4ec5
	v_mul_u32_u24_sdwa v6, v25, s2 dst_sel:DWORD dst_unused:UNUSED_PAD src0_sel:WORD_0 src1_sel:DWORD
	v_lshrrev_b32_e32 v22, 19, v6
	v_mul_lo_u16_e32 v6, 26, v22
	v_sub_u16_e32 v23, v25, v6
	v_mul_u32_u24_e32 v6, 5, v23
	v_lshlrev_b32_e32 v25, 3, v6
	global_load_dwordx4 v[6:9], v25, s[8:9] offset:104
	global_load_dwordx4 v[18:21], v25, s[8:9] offset:120
	global_load_dwordx2 v[10:11], v25, s[8:9] offset:136
	v_mul_lo_u16_e32 v22, 0x9c, v22
	v_lshlrev_b32_e32 v22, 3, v22
	v_lshlrev_b32_e32 v23, 3, v23
	v_add3_u32 v22, 0, v23, v22
	s_waitcnt vmcnt(2)
	v_mul_f32_e32 v23, v0, v9
	s_waitcnt vmcnt(1)
	v_mul_f32_e32 v25, v4, v21
	v_mul_f32_e32 v9, v1, v9
	;; [unrolled: 1-line block ×4, first 2 shown]
	s_waitcnt vmcnt(0)
	v_mul_f32_e32 v30, v17, v11
	v_mul_f32_e32 v19, v14, v19
	;; [unrolled: 1-line block ×5, first 2 shown]
	v_fma_f32 v1, v1, v8, -v23
	v_fma_f32 v5, v5, v20, -v25
	v_fmac_f32_e32 v9, v0, v8
	v_fmac_f32_e32 v21, v4, v20
	v_fma_f32 v0, v15, v18, -v19
	v_fma_f32 v4, v17, v10, -v11
	v_fmac_f32_e32 v28, v12, v6
	v_fmac_f32_e32 v29, v14, v18
	;; [unrolled: 1-line block ×3, first 2 shown]
	v_fma_f32 v6, v13, v6, -v7
	v_add_f32_e32 v7, v1, v5
	v_add_f32_e32 v12, v0, v4
	;; [unrolled: 1-line block ×3, first 2 shown]
	v_sub_f32_e32 v11, v0, v4
	v_sub_f32_e32 v13, v29, v30
	v_add_f32_e32 v14, v3, v1
	v_add_f32_e32 v0, v6, v0
	;; [unrolled: 1-line block ×3, first 2 shown]
	v_fma_f32 v7, -0.5, v7, v3
	v_fma_f32 v6, -0.5, v12, v6
	v_sub_f32_e32 v8, v9, v21
	v_sub_f32_e32 v16, v1, v5
	v_add_f32_e32 v1, v2, v9
	v_add_f32_e32 v9, v28, v29
	v_fma_f32 v10, -0.5, v10, v28
	v_add_f32_e32 v3, v14, v5
	v_fma_f32 v12, -0.5, v15, v2
	v_mov_b32_e32 v14, v7
	v_mov_b32_e32 v15, v6
	v_fmac_f32_e32 v6, 0x3f5db3d7, v13
	v_add_f32_e32 v5, v9, v30
	v_mov_b32_e32 v9, v10
	v_fmac_f32_e32 v7, 0x3f5db3d7, v8
	v_fmac_f32_e32 v10, 0xbf5db3d7, v11
	;; [unrolled: 1-line block ×4, first 2 shown]
	v_mul_f32_e32 v8, 0.5, v6
	v_mul_f32_e32 v6, 0xbf5db3d7, v6
	v_add_f32_e32 v4, v0, v4
	v_add_f32_e32 v2, v1, v21
	v_mov_b32_e32 v17, v12
	v_fmac_f32_e32 v12, 0xbf5db3d7, v16
	v_fmac_f32_e32 v9, 0x3f5db3d7, v11
	v_mul_f32_e32 v11, -0.5, v15
	v_fmac_f32_e32 v8, 0x3f5db3d7, v10
	v_mul_f32_e32 v13, 0xbf5db3d7, v15
	v_fmac_f32_e32 v6, 0.5, v10
	v_sub_f32_e32 v1, v3, v4
	v_sub_f32_e32 v0, v2, v5
	v_add_f32_e32 v3, v3, v4
	v_add_f32_e32 v2, v2, v5
	v_fmac_f32_e32 v17, 0x3f5db3d7, v16
	v_fmac_f32_e32 v11, 0x3f5db3d7, v9
	v_sub_f32_e32 v5, v7, v8
	v_fmac_f32_e32 v13, -0.5, v9
	v_sub_f32_e32 v4, v12, v6
	v_add_f32_e32 v7, v7, v8
	v_add_f32_e32 v6, v12, v6
	v_sub_f32_e32 v9, v14, v11
	v_sub_f32_e32 v8, v17, v13
	v_add_f32_e32 v11, v14, v11
	v_add_f32_e32 v10, v17, v13
	ds_write2_b64 v22, v[2:3], v[6:7] offset1:26
	ds_write2_b64 v22, v[10:11], v[0:1] offset0:52 offset1:78
	ds_write2_b64 v22, v[4:5], v[8:9] offset0:104 offset1:130
.LBB0_21:
	s_or_b64 exec, exec, s[4:5]
	v_mul_u32_u24_e32 v0, 10, v24
	v_lshlrev_b32_e32 v20, 3, v0
	s_waitcnt lgkmcnt(0)
	s_barrier
	global_load_dwordx4 v[0:3], v20, s[8:9] offset:1144
	global_load_dwordx4 v[4:7], v20, s[8:9] offset:1160
	;; [unrolled: 1-line block ×5, first 2 shown]
	ds_read2_b64 v[20:23], v34 offset1:156
	v_add_u32_e32 v25, 0x800, v34
	ds_read_b64 v[32:33], v34 offset:12480
	v_add_u32_e32 v47, 0x1200, v34
	v_add_u32_e32 v48, 0x1c00, v34
	v_add_u32_e32 v49, 0x2400, v34
	ds_read2_b64 v[28:31], v25 offset0:56 offset1:212
	ds_read2_b64 v[35:38], v47 offset0:48 offset1:204
	;; [unrolled: 1-line block ×4, first 2 shown]
	s_mov_b32 s2, 0x3f575c64
	s_mov_b32 s3, 0x3ed4b147
	;; [unrolled: 1-line block ×5, first 2 shown]
	s_waitcnt vmcnt(0) lgkmcnt(0)
	s_barrier
	v_mul_f32_e32 v50, v1, v23
	v_mul_f32_e32 v1, v1, v22
	;; [unrolled: 1-line block ×12, first 2 shown]
	v_fmac_f32_e32 v50, v0, v22
	v_fma_f32 v0, v0, v23, -v1
	v_mul_f32_e32 v54, v9, v38
	v_mul_f32_e32 v9, v9, v37
	;; [unrolled: 1-line block ×6, first 2 shown]
	v_fmac_f32_e32 v51, v2, v28
	v_fma_f32 v2, v2, v29, -v3
	v_fmac_f32_e32 v52, v4, v30
	v_fma_f32 v3, v4, v31, -v5
	;; [unrolled: 2-line block ×4, first 2 shown]
	v_fma_f32 v1, v33, v18, -v19
	v_add_f32_e32 v10, v50, v20
	v_add_f32_e32 v11, v0, v21
	v_fmac_f32_e32 v54, v8, v37
	v_fma_f32 v5, v8, v38, -v9
	v_fma_f32 v7, v42, v12, -v13
	v_fma_f32 v8, v44, v14, -v15
	v_add_f32_e32 v13, v0, v1
	v_sub_f32_e32 v15, v0, v1
	v_add_f32_e32 v0, v10, v51
	v_add_f32_e32 v10, v11, v2
	;; [unrolled: 1-line block ×6, first 2 shown]
	v_mul_f32_e32 v58, v46, v17
	v_mul_f32_e32 v17, v45, v17
	v_fmac_f32_e32 v59, v32, v18
	v_add_f32_e32 v10, v10, v7
	v_fmac_f32_e32 v56, v41, v12
	v_fmac_f32_e32 v57, v43, v14
	v_fmac_f32_e32 v58, v45, v16
	v_fma_f32 v9, v46, v16, -v17
	v_add_f32_e32 v12, v50, v59
	v_sub_f32_e32 v14, v50, v59
	v_mul_f32_e32 v11, 0xbf0a6770, v15
	v_mul_f32_e32 v16, 0x3f575c64, v13
	v_add_f32_e32 v10, v10, v8
	v_mov_b32_e32 v17, v11
	v_mov_b32_e32 v18, v16
	v_fma_f32 v11, v12, s2, -v11
	v_add_f32_e32 v10, v10, v9
	v_fmac_f32_e32 v16, 0xbf0a6770, v14
	v_add_f32_e32 v1, v10, v1
	v_add_f32_e32 v10, v11, v20
	;; [unrolled: 1-line block ×3, first 2 shown]
	v_mul_f32_e32 v16, 0xbf68dda4, v15
	v_mul_f32_e32 v28, 0xbf7d64f0, v15
	;; [unrolled: 1-line block ×4, first 2 shown]
	v_mov_b32_e32 v19, v16
	v_mul_f32_e32 v22, 0x3ed4b147, v13
	v_mov_b32_e32 v29, v28
	v_mul_f32_e32 v30, 0xbe11bafb, v13
	;; [unrolled: 2-line block ×4, first 2 shown]
	v_fmac_f32_e32 v17, 0x3f575c64, v12
	v_fmac_f32_e32 v19, 0x3ed4b147, v12
	v_mov_b32_e32 v23, v22
	v_fma_f32 v16, v12, s3, -v16
	v_fmac_f32_e32 v29, 0xbe11bafb, v12
	v_mov_b32_e32 v31, v30
	v_fma_f32 v28, v12, s4, -v28
	;; [unrolled: 3-line block ×4, first 2 shown]
	v_add_f32_e32 v15, v2, v9
	v_sub_f32_e32 v2, v2, v9
	v_fmac_f32_e32 v18, 0x3f0a6770, v14
	v_fmac_f32_e32 v23, 0x3f68dda4, v14
	v_fmac_f32_e32 v22, 0xbf68dda4, v14
	v_fmac_f32_e32 v31, 0x3f7d64f0, v14
	v_fmac_f32_e32 v30, 0xbf7d64f0, v14
	v_fmac_f32_e32 v36, 0x3f4178ce, v14
	v_fmac_f32_e32 v35, 0xbf4178ce, v14
	v_fmac_f32_e32 v38, 0x3e903f40, v14
	v_fmac_f32_e32 v13, 0xbe903f40, v14
	v_mul_f32_e32 v9, 0xbf68dda4, v2
	v_add_f32_e32 v18, v18, v21
	v_add_f32_e32 v23, v23, v21
	;; [unrolled: 1-line block ×10, first 2 shown]
	v_mov_b32_e32 v21, v9
	v_add_f32_e32 v17, v17, v20
	v_fmac_f32_e32 v21, 0x3ed4b147, v14
	v_add_f32_e32 v19, v19, v20
	v_add_f32_e32 v16, v16, v20
	;; [unrolled: 1-line block ×8, first 2 shown]
	v_sub_f32_e32 v20, v51, v58
	v_add_f32_e32 v17, v21, v17
	v_mul_f32_e32 v21, 0x3ed4b147, v15
	v_mov_b32_e32 v39, v21
	v_fma_f32 v9, v14, s3, -v9
	v_fmac_f32_e32 v21, 0xbf68dda4, v20
	v_add_f32_e32 v9, v9, v10
	v_add_f32_e32 v10, v21, v11
	v_mul_f32_e32 v11, 0xbf4178ce, v2
	v_mov_b32_e32 v21, v11
	v_fmac_f32_e32 v21, 0xbf27a4f4, v14
	v_fmac_f32_e32 v39, 0x3f68dda4, v20
	v_add_f32_e32 v19, v21, v19
	v_mul_f32_e32 v21, 0xbf27a4f4, v15
	v_add_f32_e32 v18, v39, v18
	v_mov_b32_e32 v39, v21
	v_fma_f32 v11, v14, s5, -v11
	v_fmac_f32_e32 v21, 0xbf4178ce, v20
	v_add_f32_e32 v11, v11, v16
	v_add_f32_e32 v16, v21, v22
	v_mul_f32_e32 v21, 0x3e903f40, v2
	v_mov_b32_e32 v22, v21
	v_fmac_f32_e32 v22, 0xbf75a155, v14
	v_fmac_f32_e32 v39, 0x3f4178ce, v20
	v_add_f32_e32 v22, v22, v29
	v_mul_f32_e32 v29, 0xbf75a155, v15
	v_add_f32_e32 v23, v39, v23
	;; [unrolled: 12-line block ×3, first 2 shown]
	v_mov_b32_e32 v39, v33
	v_fma_f32 v29, v14, s4, -v29
	v_fmac_f32_e32 v33, 0x3f7d64f0, v20
	v_mul_f32_e32 v2, 0x3f0a6770, v2
	v_add_f32_e32 v29, v29, v32
	v_add_f32_e32 v32, v33, v35
	v_mov_b32_e32 v33, v2
	v_fmac_f32_e32 v33, 0x3f575c64, v14
	v_mul_f32_e32 v15, 0x3f575c64, v15
	v_fma_f32 v2, v14, s2, -v2
	v_add_f32_e32 v14, v3, v8
	v_sub_f32_e32 v3, v3, v8
	v_mov_b32_e32 v35, v15
	v_fmac_f32_e32 v15, 0x3f0a6770, v20
	v_mul_f32_e32 v8, 0xbf7d64f0, v3
	v_fmac_f32_e32 v39, 0xbf7d64f0, v20
	v_fmac_f32_e32 v35, 0xbf0a6770, v20
	v_add_f32_e32 v2, v2, v12
	v_add_f32_e32 v12, v15, v13
	;; [unrolled: 1-line block ×3, first 2 shown]
	v_mov_b32_e32 v20, v8
	v_fmac_f32_e32 v20, 0xbe11bafb, v13
	v_sub_f32_e32 v15, v52, v57
	v_add_f32_e32 v17, v20, v17
	v_mul_f32_e32 v20, 0xbe11bafb, v14
	v_add_f32_e32 v33, v33, v37
	v_mov_b32_e32 v37, v20
	v_fma_f32 v8, v13, s4, -v8
	v_fmac_f32_e32 v20, 0xbf7d64f0, v15
	v_add_f32_e32 v8, v8, v9
	v_add_f32_e32 v9, v20, v10
	v_mul_f32_e32 v10, 0x3e903f40, v3
	v_mov_b32_e32 v20, v10
	v_fmac_f32_e32 v20, 0xbf75a155, v13
	v_fmac_f32_e32 v37, 0x3f7d64f0, v15
	v_add_f32_e32 v19, v20, v19
	v_mul_f32_e32 v20, 0xbf75a155, v14
	v_add_f32_e32 v18, v37, v18
	v_mov_b32_e32 v37, v20
	v_fma_f32 v10, v13, s6, -v10
	v_fmac_f32_e32 v20, 0x3e903f40, v15
	v_add_f32_e32 v10, v10, v11
	v_add_f32_e32 v11, v20, v16
	v_mul_f32_e32 v16, 0x3f68dda4, v3
	v_mov_b32_e32 v20, v16
	v_fmac_f32_e32 v20, 0x3ed4b147, v13
	v_fmac_f32_e32 v37, 0xbe903f40, v15
	;; [unrolled: 12-line block ×3, first 2 shown]
	v_add_f32_e32 v28, v28, v30
	v_mul_f32_e32 v30, 0x3f575c64, v14
	v_add_f32_e32 v31, v37, v31
	v_mov_b32_e32 v37, v30
	v_fma_f32 v22, v13, s2, -v22
	v_fmac_f32_e32 v30, 0xbf0a6770, v15
	v_mul_f32_e32 v3, 0xbf4178ce, v3
	v_add_f32_e32 v22, v22, v29
	v_add_f32_e32 v29, v30, v32
	v_mov_b32_e32 v30, v3
	v_fmac_f32_e32 v30, 0xbf27a4f4, v13
	v_mul_f32_e32 v14, 0xbf27a4f4, v14
	v_fma_f32 v3, v13, s5, -v3
	v_add_f32_e32 v13, v4, v7
	v_sub_f32_e32 v4, v4, v7
	v_mov_b32_e32 v32, v14
	v_fmac_f32_e32 v14, 0xbf4178ce, v15
	v_mul_f32_e32 v7, 0xbf4178ce, v4
	v_fmac_f32_e32 v37, 0x3f0a6770, v15
	v_fmac_f32_e32 v32, 0x3f4178ce, v15
	v_add_f32_e32 v2, v3, v2
	v_add_f32_e32 v3, v14, v12
	;; [unrolled: 1-line block ×3, first 2 shown]
	v_mov_b32_e32 v15, v7
	v_fmac_f32_e32 v15, 0xbf27a4f4, v12
	v_sub_f32_e32 v14, v53, v56
	v_add_f32_e32 v15, v15, v17
	v_mul_f32_e32 v17, 0xbf27a4f4, v13
	v_add_f32_e32 v30, v30, v33
	v_mov_b32_e32 v33, v17
	v_fma_f32 v7, v12, s5, -v7
	v_fmac_f32_e32 v17, 0xbf4178ce, v14
	v_add_f32_e32 v7, v7, v8
	v_add_f32_e32 v8, v17, v9
	v_mul_f32_e32 v9, 0x3f7d64f0, v4
	v_mov_b32_e32 v17, v9
	v_fmac_f32_e32 v17, 0xbe11bafb, v12
	v_fmac_f32_e32 v33, 0x3f4178ce, v14
	v_add_f32_e32 v17, v17, v19
	v_mul_f32_e32 v19, 0xbe11bafb, v13
	v_add_f32_e32 v18, v33, v18
	v_mov_b32_e32 v33, v19
	v_fma_f32 v9, v12, s4, -v9
	v_fmac_f32_e32 v19, 0x3f7d64f0, v14
	v_add_f32_e32 v9, v9, v10
	v_add_f32_e32 v10, v19, v11
	v_mul_f32_e32 v11, 0xbf0a6770, v4
	v_mov_b32_e32 v19, v11
	v_fmac_f32_e32 v19, 0x3f575c64, v12
	v_fmac_f32_e32 v33, 0xbf7d64f0, v14
	v_add_f32_e32 v19, v19, v20
	v_mul_f32_e32 v20, 0x3f575c64, v13
	v_fma_f32 v11, v12, s2, -v11
	v_add_f32_e32 v23, v33, v23
	v_mov_b32_e32 v33, v20
	v_add_f32_e32 v16, v11, v16
	v_fmac_f32_e32 v20, 0xbf0a6770, v14
	v_mul_f32_e32 v11, 0xbe903f40, v4
	v_add_f32_e32 v20, v20, v21
	v_mov_b32_e32 v21, v11
	v_fmac_f32_e32 v21, 0xbf75a155, v12
	v_fma_f32 v11, v12, s6, -v11
	v_mul_f32_e32 v4, 0x3f68dda4, v4
	v_fmac_f32_e32 v33, 0x3f0a6770, v14
	v_add_f32_e32 v21, v21, v28
	v_mul_f32_e32 v28, 0xbf75a155, v13
	v_add_f32_e32 v22, v11, v22
	v_mov_b32_e32 v11, v4
	v_add_f32_e32 v31, v33, v31
	v_mov_b32_e32 v33, v28
	v_fmac_f32_e32 v28, 0xbe903f40, v14
	v_fmac_f32_e32 v11, 0x3ed4b147, v12
	v_add_f32_e32 v36, v39, v36
	v_add_f32_e32 v28, v28, v29
	;; [unrolled: 1-line block ×3, first 2 shown]
	v_mul_f32_e32 v11, 0x3ed4b147, v13
	v_add_f32_e32 v35, v35, v38
	v_add_f32_e32 v36, v37, v36
	v_mov_b32_e32 v13, v11
	v_add_f32_e32 v37, v5, v6
	v_add_f32_e32 v32, v32, v35
	v_fmac_f32_e32 v33, 0x3e903f40, v14
	v_fmac_f32_e32 v13, 0xbf68dda4, v14
	v_fma_f32 v4, v12, s3, -v4
	v_fmac_f32_e32 v11, 0x3f68dda4, v14
	v_sub_f32_e32 v38, v54, v55
	v_sub_f32_e32 v39, v5, v6
	v_mul_f32_e32 v5, 0xbf75a155, v37
	v_add_f32_e32 v33, v33, v36
	v_add_f32_e32 v30, v13, v32
	;; [unrolled: 1-line block ×5, first 2 shown]
	v_mul_f32_e32 v4, 0xbe903f40, v39
	v_mov_b32_e32 v3, v5
	v_fmac_f32_e32 v5, 0xbe903f40, v38
	v_mov_b32_e32 v2, v4
	v_fma_f32 v4, v36, s6, -v4
	v_add_f32_e32 v5, v5, v8
	v_mul_f32_e32 v8, 0x3f0a6770, v39
	v_mul_f32_e32 v11, 0x3f575c64, v37
	v_add_f32_e32 v0, v0, v52
	v_add_f32_e32 v4, v4, v7
	v_mov_b32_e32 v6, v8
	v_mov_b32_e32 v7, v11
	v_fma_f32 v8, v36, s2, -v8
	v_fmac_f32_e32 v11, 0x3f0a6770, v38
	v_mul_f32_e32 v12, 0xbf4178ce, v39
	v_add_f32_e32 v0, v0, v53
	v_add_f32_e32 v8, v8, v9
	;; [unrolled: 1-line block ×3, first 2 shown]
	v_mov_b32_e32 v10, v12
	v_fma_f32 v12, v36, s5, -v12
	v_add_f32_e32 v0, v0, v54
	v_add_f32_e32 v12, v12, v16
	v_mul_f32_e32 v16, 0x3f68dda4, v39
	v_add_f32_e32 v0, v0, v55
	v_mul_f32_e32 v13, 0xbf27a4f4, v37
	v_mov_b32_e32 v14, v16
	v_add_f32_e32 v0, v0, v56
	v_fmac_f32_e32 v6, 0x3f575c64, v36
	v_mov_b32_e32 v11, v13
	v_fmac_f32_e32 v13, 0xbf4178ce, v38
	v_fmac_f32_e32 v14, 0x3ed4b147, v36
	v_add_f32_e32 v0, v0, v57
	v_fmac_f32_e32 v2, 0xbf75a155, v36
	v_fmac_f32_e32 v3, 0x3e903f40, v38
	v_add_f32_e32 v6, v6, v17
	v_fmac_f32_e32 v10, 0xbf27a4f4, v36
	v_add_f32_e32 v13, v13, v20
	v_add_f32_e32 v14, v14, v21
	v_mul_f32_e32 v17, 0x3ed4b147, v37
	v_mul_f32_e32 v20, 0xbf7d64f0, v39
	;; [unrolled: 1-line block ×3, first 2 shown]
	v_add_f32_e32 v0, v0, v58
	v_add_f32_e32 v2, v2, v15
	;; [unrolled: 1-line block ×4, first 2 shown]
	v_mov_b32_e32 v15, v17
	v_mov_b32_e32 v18, v20
	;; [unrolled: 1-line block ×3, first 2 shown]
	v_add_f32_e32 v0, v0, v59
	v_fmac_f32_e32 v7, 0xbf0a6770, v38
	v_fmac_f32_e32 v11, 0x3f4178ce, v38
	;; [unrolled: 1-line block ×3, first 2 shown]
	v_fma_f32 v16, v36, s3, -v16
	v_fmac_f32_e32 v17, 0x3f68dda4, v38
	v_fmac_f32_e32 v18, 0xbe11bafb, v36
	;; [unrolled: 1-line block ×3, first 2 shown]
	v_fma_f32 v20, v36, s4, -v20
	v_fmac_f32_e32 v21, 0xbf7d64f0, v38
	v_add_f32_e32 v7, v7, v23
	v_add_f32_e32 v11, v11, v31
	;; [unrolled: 1-line block ×9, first 2 shown]
	ds_write2_b64 v34, v[0:1], v[2:3] offset1:156
	ds_write2_b64 v25, v[6:7], v[10:11] offset0:56 offset1:212
	ds_write2_b64 v47, v[14:15], v[18:19] offset0:48 offset1:204
	;; [unrolled: 1-line block ×4, first 2 shown]
	ds_write_b64 v34, v[4:5] offset:12480
	s_waitcnt lgkmcnt(0)
	s_barrier
	ds_read_b64 v[0:1], v34
	s_add_u32 s6, s8, 0x3538
	v_lshlrev_b32_e32 v2, 3, v24
	s_addc_u32 s7, s9, 0
	v_sub_u32_e32 v6, 0, v2
	v_cmp_ne_u32_e64 s[2:3], 0, v24
                                        ; implicit-def: $vgpr5
                                        ; implicit-def: $vgpr7
                                        ; implicit-def: $vgpr2_vgpr3
	s_and_saveexec_b64 s[4:5], s[2:3]
	s_xor_b64 s[4:5], exec, s[4:5]
	s_cbranch_execz .LBB0_23
; %bb.22:
	v_mov_b32_e32 v25, 0
	v_lshlrev_b64 v[2:3], 3, v[24:25]
	v_mov_b32_e32 v4, s7
	v_add_co_u32_e64 v2, s[2:3], s6, v2
	v_addc_co_u32_e64 v3, s[2:3], v4, v3, s[2:3]
	global_load_dwordx2 v[2:3], v[2:3], off
	ds_read_b64 v[4:5], v6 offset:13728
	s_waitcnt lgkmcnt(0)
	v_add_f32_e32 v8, v4, v0
	v_sub_f32_e32 v0, v0, v4
	v_add_f32_e32 v7, v5, v1
	v_sub_f32_e32 v1, v1, v5
	v_mul_f32_e32 v0, 0.5, v0
	v_mul_f32_e32 v4, 0.5, v7
	;; [unrolled: 1-line block ×3, first 2 shown]
	s_waitcnt vmcnt(0)
	v_mul_f32_e32 v5, v3, v0
	v_fma_f32 v7, v4, v3, v1
	v_fma_f32 v1, v4, v3, -v1
	v_fma_f32 v3, 0.5, v8, v5
	v_fma_f32 v8, v8, 0.5, -v5
	v_fmac_f32_e32 v3, v2, v4
	v_fma_f32 v7, -v2, v0, v7
	v_fma_f32 v5, -v2, v0, v1
	;; [unrolled: 1-line block ×3, first 2 shown]
	ds_write_b32 v34, v3
	v_mov_b32_e32 v2, v24
	v_mov_b32_e32 v3, v25
                                        ; implicit-def: $vgpr0_vgpr1
.LBB0_23:
	s_andn2_saveexec_b64 s[2:3], s[4:5]
	s_cbranch_execz .LBB0_25
; %bb.24:
	v_mov_b32_e32 v7, 0
	ds_read_b32 v5, v7 offset:6868
	v_mov_b32_e32 v2, 0
	s_waitcnt lgkmcnt(1)
	v_add_f32_e32 v8, v0, v1
	v_sub_f32_e32 v4, v0, v1
	v_mov_b32_e32 v3, 0
	s_waitcnt lgkmcnt(0)
	v_xor_b32_e32 v0, 0x80000000, v5
	v_mov_b32_e32 v5, v7
	ds_write_b32 v34, v8
	ds_write_b32 v7, v0 offset:6868
.LBB0_25:
	s_or_b64 exec, exec, s[2:3]
	s_waitcnt lgkmcnt(0)
	v_lshlrev_b64 v[0:1], 3, v[2:3]
	v_mov_b32_e32 v3, s7
	v_add_co_u32_e64 v2, s[2:3], s6, v0
	v_addc_co_u32_e64 v3, s[2:3], v3, v1, s[2:3]
	global_load_dwordx2 v[8:9], v[2:3], off offset:1248
	global_load_dwordx2 v[10:11], v[2:3], off offset:2496
	;; [unrolled: 1-line block ×3, first 2 shown]
	s_movk_i32 s2, 0x1000
	v_add_co_u32_e64 v16, s[2:3], s2, v2
	ds_write_b32 v34, v7 offset:4
	ds_write_b64 v6, v[4:5] offset:13728
	v_addc_co_u32_e64 v17, s[2:3], 0, v3, s[2:3]
	ds_read_b64 v[4:5], v34 offset:1248
	ds_read_b64 v[14:15], v6 offset:12480
	global_load_dwordx2 v[16:17], v[16:17], off offset:896
	s_waitcnt lgkmcnt(0)
	v_add_f32_e32 v7, v4, v14
	v_sub_f32_e32 v4, v4, v14
	v_add_f32_e32 v18, v5, v15
	v_sub_f32_e32 v5, v5, v15
	v_mul_f32_e32 v15, 0.5, v4
	v_mul_f32_e32 v14, 0.5, v18
	v_mul_f32_e32 v4, 0.5, v5
	s_waitcnt vmcnt(3)
	v_mul_f32_e32 v18, v9, v15
	v_fma_f32 v5, v14, v9, v4
	v_fma_f32 v9, v14, v9, -v4
	v_fma_f32 v4, 0.5, v7, v18
	v_fma_f32 v5, -v8, v15, v5
	v_fma_f32 v7, v7, 0.5, -v18
	v_fmac_f32_e32 v4, v8, v14
	v_fma_f32 v9, -v8, v15, v9
	v_fma_f32 v8, -v8, v14, v7
	ds_write_b64 v34, v[4:5] offset:1248
	ds_write_b64 v6, v[8:9] offset:12480
	ds_read_b64 v[4:5], v34 offset:2496
	ds_read_b64 v[7:8], v6 offset:11232
	s_waitcnt lgkmcnt(0)
	v_add_f32_e32 v9, v4, v7
	v_sub_f32_e32 v4, v4, v7
	v_add_f32_e32 v14, v5, v8
	v_sub_f32_e32 v5, v5, v8
	v_mul_f32_e32 v8, 0.5, v4
	v_mul_f32_e32 v7, 0.5, v14
	v_mul_f32_e32 v4, 0.5, v5
	s_waitcnt vmcnt(2)
	v_mul_f32_e32 v14, v11, v8
	v_fma_f32 v5, v7, v11, v4
	v_fma_f32 v11, v7, v11, -v4
	v_fma_f32 v4, 0.5, v9, v14
	v_fma_f32 v5, -v10, v8, v5
	v_fma_f32 v9, v9, 0.5, -v14
	v_fmac_f32_e32 v4, v10, v7
	v_fma_f32 v8, -v10, v8, v11
	v_fma_f32 v7, -v10, v7, v9
	ds_write_b64 v34, v[4:5] offset:2496
	ds_write_b64 v6, v[7:8] offset:11232
	ds_read_b64 v[4:5], v34 offset:3744
	ds_read_b64 v[7:8], v6 offset:9984
	;; [unrolled: 22-line block ×3, first 2 shown]
	s_waitcnt lgkmcnt(0)
	v_add_f32_e32 v9, v4, v7
	v_sub_f32_e32 v4, v4, v7
	v_add_f32_e32 v10, v5, v8
	v_sub_f32_e32 v5, v5, v8
	v_mul_f32_e32 v8, 0.5, v4
	v_mul_f32_e32 v7, 0.5, v10
	;; [unrolled: 1-line block ×3, first 2 shown]
	s_waitcnt vmcnt(0)
	v_mul_f32_e32 v10, v17, v8
	v_fma_f32 v5, v7, v17, v4
	v_fma_f32 v11, v7, v17, -v4
	v_fma_f32 v4, 0.5, v9, v10
	v_fma_f32 v5, -v16, v8, v5
	v_fma_f32 v9, v9, 0.5, -v10
	v_fmac_f32_e32 v4, v16, v7
	v_fma_f32 v8, -v16, v8, v11
	v_fma_f32 v7, -v16, v7, v9
	ds_write_b64 v34, v[4:5] offset:4992
	ds_write_b64 v6, v[7:8] offset:8736
	s_and_saveexec_b64 s[2:3], vcc
	s_cbranch_execz .LBB0_27
; %bb.26:
	v_add_co_u32_e32 v2, vcc, 0x1000, v2
	v_addc_co_u32_e32 v3, vcc, 0, v3, vcc
	global_load_dwordx2 v[2:3], v[2:3], off offset:2144
	ds_read_b64 v[4:5], v34 offset:6240
	ds_read_b64 v[7:8], v6 offset:7488
	s_waitcnt lgkmcnt(0)
	v_add_f32_e32 v9, v4, v7
	v_sub_f32_e32 v4, v4, v7
	v_add_f32_e32 v10, v5, v8
	v_sub_f32_e32 v5, v5, v8
	v_mul_f32_e32 v8, 0.5, v4
	v_mul_f32_e32 v7, 0.5, v10
	;; [unrolled: 1-line block ×3, first 2 shown]
	s_waitcnt vmcnt(0)
	v_mul_f32_e32 v5, v3, v8
	v_fma_f32 v10, v7, v3, v4
	v_fma_f32 v11, v7, v3, -v4
	v_fma_f32 v3, 0.5, v9, v5
	v_fma_f32 v4, -v2, v8, v10
	v_fma_f32 v5, v9, 0.5, -v5
	v_fmac_f32_e32 v3, v2, v7
	v_fma_f32 v8, -v2, v8, v11
	v_fma_f32 v7, -v2, v7, v5
	ds_write_b64 v34, v[3:4] offset:6240
	ds_write_b64 v6, v[7:8] offset:7488
.LBB0_27:
	s_or_b64 exec, exec, s[2:3]
	s_waitcnt lgkmcnt(0)
	s_barrier
	s_and_saveexec_b64 s[2:3], s[0:1]
	s_cbranch_execz .LBB0_30
; %bb.28:
	ds_read2_b64 v[4:7], v34 offset1:156
	v_mov_b32_e32 v2, s13
	v_add_co_u32_e32 v3, vcc, s12, v26
	v_add_u32_e32 v8, 0x800, v34
	v_addc_co_u32_e32 v2, vcc, v2, v27, vcc
	ds_read2_b64 v[8:11], v8 offset0:56 offset1:212
	v_add_co_u32_e32 v0, vcc, v3, v0
	v_addc_co_u32_e32 v1, vcc, v2, v1, vcc
	s_waitcnt lgkmcnt(1)
	global_store_dwordx2 v[0:1], v[4:5], off
	global_store_dwordx2 v[0:1], v[6:7], off offset:1248
	s_waitcnt lgkmcnt(0)
	global_store_dwordx2 v[0:1], v[8:9], off offset:2496
	global_store_dwordx2 v[0:1], v[10:11], off offset:3744
	v_add_u32_e32 v4, 0x1200, v34
	ds_read2_b64 v[4:7], v4 offset0:48 offset1:204
	v_add_u32_e32 v8, 0x1c00, v34
	s_movk_i32 s0, 0x1000
	ds_read2_b64 v[8:11], v8 offset0:40 offset1:196
	v_add_co_u32_e32 v12, vcc, s0, v0
	v_addc_co_u32_e32 v13, vcc, 0, v1, vcc
	s_waitcnt lgkmcnt(1)
	global_store_dwordx2 v[12:13], v[4:5], off offset:896
	global_store_dwordx2 v[12:13], v[6:7], off offset:2144
	s_waitcnt lgkmcnt(0)
	global_store_dwordx2 v[12:13], v[8:9], off offset:3392
	v_add_u32_e32 v4, 0x2400, v34
	ds_read2_b64 v[4:7], v4 offset0:96 offset1:252
	s_movk_i32 s0, 0x2000
	v_add_co_u32_e32 v8, vcc, s0, v0
	v_addc_co_u32_e32 v9, vcc, 0, v1, vcc
	global_store_dwordx2 v[8:9], v[10:11], off offset:544
	s_waitcnt lgkmcnt(0)
	global_store_dwordx2 v[8:9], v[4:5], off offset:1792
	global_store_dwordx2 v[8:9], v[6:7], off offset:3040
	ds_read_b64 v[4:5], v34 offset:12480
	v_add_co_u32_e32 v0, vcc, 0x3000, v0
	v_addc_co_u32_e32 v1, vcc, 0, v1, vcc
	s_movk_i32 s0, 0x9b
	v_cmp_eq_u32_e32 vcc, s0, v24
	s_waitcnt lgkmcnt(0)
	global_store_dwordx2 v[0:1], v[4:5], off offset:192
	s_and_b64 exec, exec, vcc
	s_cbranch_execz .LBB0_30
; %bb.29:
	v_mov_b32_e32 v0, 0
	ds_read_b64 v[0:1], v0 offset:13728
	v_add_co_u32_e32 v3, vcc, 0x3000, v3
	v_addc_co_u32_e32 v4, vcc, 0, v2, vcc
	s_waitcnt lgkmcnt(0)
	global_store_dwordx2 v[3:4], v[0:1], off offset:1440
.LBB0_30:
	s_endpgm
	.section	.rodata,"a",@progbits
	.p2align	6, 0x0
	.amdhsa_kernel fft_rtc_back_len1716_factors_13_2_6_11_wgs_156_tpt_156_sp_ip_CI_unitstride_sbrr_R2C_dirReg
		.amdhsa_group_segment_fixed_size 0
		.amdhsa_private_segment_fixed_size 0
		.amdhsa_kernarg_size 88
		.amdhsa_user_sgpr_count 6
		.amdhsa_user_sgpr_private_segment_buffer 1
		.amdhsa_user_sgpr_dispatch_ptr 0
		.amdhsa_user_sgpr_queue_ptr 0
		.amdhsa_user_sgpr_kernarg_segment_ptr 1
		.amdhsa_user_sgpr_dispatch_id 0
		.amdhsa_user_sgpr_flat_scratch_init 0
		.amdhsa_user_sgpr_private_segment_size 0
		.amdhsa_uses_dynamic_stack 0
		.amdhsa_system_sgpr_private_segment_wavefront_offset 0
		.amdhsa_system_sgpr_workgroup_id_x 1
		.amdhsa_system_sgpr_workgroup_id_y 0
		.amdhsa_system_sgpr_workgroup_id_z 0
		.amdhsa_system_sgpr_workgroup_info 0
		.amdhsa_system_vgpr_workitem_id 0
		.amdhsa_next_free_vgpr 128
		.amdhsa_next_free_sgpr 22
		.amdhsa_reserve_vcc 1
		.amdhsa_reserve_flat_scratch 0
		.amdhsa_float_round_mode_32 0
		.amdhsa_float_round_mode_16_64 0
		.amdhsa_float_denorm_mode_32 3
		.amdhsa_float_denorm_mode_16_64 3
		.amdhsa_dx10_clamp 1
		.amdhsa_ieee_mode 1
		.amdhsa_fp16_overflow 0
		.amdhsa_exception_fp_ieee_invalid_op 0
		.amdhsa_exception_fp_denorm_src 0
		.amdhsa_exception_fp_ieee_div_zero 0
		.amdhsa_exception_fp_ieee_overflow 0
		.amdhsa_exception_fp_ieee_underflow 0
		.amdhsa_exception_fp_ieee_inexact 0
		.amdhsa_exception_int_div_zero 0
	.end_amdhsa_kernel
	.text
.Lfunc_end0:
	.size	fft_rtc_back_len1716_factors_13_2_6_11_wgs_156_tpt_156_sp_ip_CI_unitstride_sbrr_R2C_dirReg, .Lfunc_end0-fft_rtc_back_len1716_factors_13_2_6_11_wgs_156_tpt_156_sp_ip_CI_unitstride_sbrr_R2C_dirReg
                                        ; -- End function
	.section	.AMDGPU.csdata,"",@progbits
; Kernel info:
; codeLenInByte = 10172
; NumSgprs: 26
; NumVgprs: 128
; ScratchSize: 0
; MemoryBound: 0
; FloatMode: 240
; IeeeMode: 1
; LDSByteSize: 0 bytes/workgroup (compile time only)
; SGPRBlocks: 3
; VGPRBlocks: 31
; NumSGPRsForWavesPerEU: 26
; NumVGPRsForWavesPerEU: 128
; Occupancy: 2
; WaveLimiterHint : 1
; COMPUTE_PGM_RSRC2:SCRATCH_EN: 0
; COMPUTE_PGM_RSRC2:USER_SGPR: 6
; COMPUTE_PGM_RSRC2:TRAP_HANDLER: 0
; COMPUTE_PGM_RSRC2:TGID_X_EN: 1
; COMPUTE_PGM_RSRC2:TGID_Y_EN: 0
; COMPUTE_PGM_RSRC2:TGID_Z_EN: 0
; COMPUTE_PGM_RSRC2:TIDIG_COMP_CNT: 0
	.type	__hip_cuid_8955a58f0c9c81d3,@object ; @__hip_cuid_8955a58f0c9c81d3
	.section	.bss,"aw",@nobits
	.globl	__hip_cuid_8955a58f0c9c81d3
__hip_cuid_8955a58f0c9c81d3:
	.byte	0                               ; 0x0
	.size	__hip_cuid_8955a58f0c9c81d3, 1

	.ident	"AMD clang version 19.0.0git (https://github.com/RadeonOpenCompute/llvm-project roc-6.4.0 25133 c7fe45cf4b819c5991fe208aaa96edf142730f1d)"
	.section	".note.GNU-stack","",@progbits
	.addrsig
	.addrsig_sym __hip_cuid_8955a58f0c9c81d3
	.amdgpu_metadata
---
amdhsa.kernels:
  - .args:
      - .actual_access:  read_only
        .address_space:  global
        .offset:         0
        .size:           8
        .value_kind:     global_buffer
      - .offset:         8
        .size:           8
        .value_kind:     by_value
      - .actual_access:  read_only
        .address_space:  global
        .offset:         16
        .size:           8
        .value_kind:     global_buffer
      - .actual_access:  read_only
        .address_space:  global
        .offset:         24
        .size:           8
        .value_kind:     global_buffer
      - .offset:         32
        .size:           8
        .value_kind:     by_value
      - .actual_access:  read_only
        .address_space:  global
        .offset:         40
        .size:           8
        .value_kind:     global_buffer
      - .actual_access:  read_only
        .address_space:  global
        .offset:         48
        .size:           8
        .value_kind:     global_buffer
      - .offset:         56
        .size:           4
        .value_kind:     by_value
      - .actual_access:  read_only
        .address_space:  global
        .offset:         64
        .size:           8
        .value_kind:     global_buffer
      - .actual_access:  read_only
        .address_space:  global
        .offset:         72
        .size:           8
        .value_kind:     global_buffer
      - .address_space:  global
        .offset:         80
        .size:           8
        .value_kind:     global_buffer
    .group_segment_fixed_size: 0
    .kernarg_segment_align: 8
    .kernarg_segment_size: 88
    .language:       OpenCL C
    .language_version:
      - 2
      - 0
    .max_flat_workgroup_size: 156
    .name:           fft_rtc_back_len1716_factors_13_2_6_11_wgs_156_tpt_156_sp_ip_CI_unitstride_sbrr_R2C_dirReg
    .private_segment_fixed_size: 0
    .sgpr_count:     26
    .sgpr_spill_count: 0
    .symbol:         fft_rtc_back_len1716_factors_13_2_6_11_wgs_156_tpt_156_sp_ip_CI_unitstride_sbrr_R2C_dirReg.kd
    .uniform_work_group_size: 1
    .uses_dynamic_stack: false
    .vgpr_count:     128
    .vgpr_spill_count: 0
    .wavefront_size: 64
amdhsa.target:   amdgcn-amd-amdhsa--gfx906
amdhsa.version:
  - 1
  - 2
...

	.end_amdgpu_metadata
